;; amdgpu-corpus repo=llvm/llvm-project kind=harvested arch=n/a opt=n/a
// NOTE: Assertions have been autogenerated by utils/update_mc_test_checks.py UTC_ARGS: --version 6
// RUN: llvm-mc -triple=amdgcn -mcpu=gfx1251 -show-encoding %s | FileCheck --check-prefix=GFX1251 %s
// RUN: not llvm-mc -triple=amdgcn -mcpu=gfx1251 -mattr=-wavefrontsize32,+wavefrontsize64 -show-encoding %s 2>&1 | FileCheck --check-prefix=WAVESIZE-ERR --implicit-check-not=error: --strict-whitespace %s
// RUN: not llvm-mc -triple=amdgcn -mcpu=gfx1250 -show-encoding %s 2>&1 | FileCheck --check-prefix=GFX1250-ERR --implicit-check-not=error: --strict-whitespace %s

v_wmma_f64_16x16x4_f64 v[8:23], v[0:3], v[4:7], v[8:23]
// GFX1250-ERR: :[[@LINE-1]]:1: error: instruction not supported on this GPU (gfx1250): v_wmma_f64_16x16x4_f64
// GFX1251: v_wmma_f64_16x16x4_f64 v[8:23], v[0:3], v[4:7], v[8:23] ; encoding: [0x08,0x00,0x5b,0xcc,0x00,0x09,0x22,0x1c]
// WAVESIZE-ERR: :[[@LINE-3]]:1: error: instruction requires wavesize=32

v_wmma_f64_16x16x4_f64 v[8:23], v[0:3], v[4:7], 1.0
// GFX1250-ERR: :[[@LINE-1]]:1: error: instruction not supported on this GPU (gfx1250): v_wmma_f64_16x16x4_f64
// GFX1251: v_wmma_f64_16x16x4_f64 v[8:23], v[0:3], v[4:7], 1.0 ; encoding: [0x08,0x00,0x5b,0xcc,0x00,0x09,0xca,0x1b]
// WAVESIZE-ERR: :[[@LINE-3]]:1: error: instruction requires wavesize=32

v_wmma_f64_16x16x4_f64 v[8:23], v[0:3], v[4:7], 1.0 neg_lo:[0,0,1]
// GFX1250-ERR: :[[@LINE-1]]:1: error: instruction not supported on this GPU (gfx1250): v_wmma_f64_16x16x4_f64
// GFX1251: v_wmma_f64_16x16x4_f64 v[8:23], v[0:3], v[4:7], 1.0 neg_lo:[0,0,1] ; encoding: [0x08,0x00,0x5b,0xcc,0x00,0x09,0xca,0x9b]
// WAVESIZE-ERR: :[[@LINE-3]]:1: error: instruction requires wavesize=32

v_wmma_f64_16x16x4_f64 v[8:23], v[0:3], v[4:7], v[8:23] neg_lo:[1,0,0]
// GFX1250-ERR: :[[@LINE-1]]:1: error: instruction not supported on this GPU (gfx1250): v_wmma_f64_16x16x4_f64
// GFX1251: v_wmma_f64_16x16x4_f64 v[8:23], v[0:3], v[4:7], v[8:23] neg_lo:[1,0,0] ; encoding: [0x08,0x00,0x5b,0xcc,0x00,0x09,0x22,0x3c]
// WAVESIZE-ERR: :[[@LINE-3]]:1: error: instruction requires wavesize=32

v_wmma_f64_16x16x4_f64 v[8:23], v[0:3], v[4:7], v[8:23] neg_lo:[0,1,0]
// GFX1250-ERR: :[[@LINE-1]]:1: error: instruction not supported on this GPU (gfx1250): v_wmma_f64_16x16x4_f64
// GFX1251: v_wmma_f64_16x16x4_f64 v[8:23], v[0:3], v[4:7], v[8:23] neg_lo:[0,1,0] ; encoding: [0x08,0x00,0x5b,0xcc,0x00,0x09,0x22,0x5c]
// WAVESIZE-ERR: :[[@LINE-3]]:1: error: instruction requires wavesize=32

v_wmma_f64_16x16x4_f64 v[8:23], v[0:3], v[4:7], v[8:23] neg_lo:[0,0,1]
// GFX1250-ERR: :[[@LINE-1]]:1: error: instruction not supported on this GPU (gfx1250): v_wmma_f64_16x16x4_f64
// GFX1251: v_wmma_f64_16x16x4_f64 v[8:23], v[0:3], v[4:7], v[8:23] neg_lo:[0,0,1] ; encoding: [0x08,0x00,0x5b,0xcc,0x00,0x09,0x22,0x9c]
// WAVESIZE-ERR: :[[@LINE-3]]:1: error: instruction requires wavesize=32

v_wmma_f64_16x16x4_f64 v[8:23], v[0:3], v[4:7], v[8:23] neg_hi:[0,0,1]
// GFX1250-ERR: :[[@LINE-1]]:1: error: instruction not supported on this GPU (gfx1250): v_wmma_f64_16x16x4_f64
// GFX1251: v_wmma_f64_16x16x4_f64 v[8:23], v[0:3], v[4:7], v[8:23] neg_hi:[0,0,1] ; encoding: [0x08,0x04,0x5b,0xcc,0x00,0x09,0x22,0x1c]
// WAVESIZE-ERR: :[[@LINE-3]]:1: error: instruction requires wavesize=32

v_wmma_f64_16x16x4_f64 v[8:23], v[0:3], v[4:7], v[8:23] matrix_a_reuse
// GFX1250-ERR: :[[@LINE-1]]:1: error: instruction not supported on this GPU (gfx1250): v_wmma_f64_16x16x4_f64
// GFX1251: v_wmma_f64_16x16x4_f64 v[8:23], v[0:3], v[4:7], v[8:23] matrix_a_reuse ; encoding: [0x08,0x20,0x5b,0xcc,0x00,0x09,0x22,0x1c]
// WAVESIZE-ERR: :[[@LINE-3]]:1: error: instruction requires wavesize=32

v_wmma_f64_16x16x4_f64 v[8:23], v[0:3], v[4:7], v[8:23] matrix_b_reuse
// GFX1250-ERR: :[[@LINE-1]]:1: error: instruction not supported on this GPU (gfx1250): v_wmma_f64_16x16x4_f64
// GFX1251: v_wmma_f64_16x16x4_f64 v[8:23], v[0:3], v[4:7], v[8:23] matrix_b_reuse ; encoding: [0x08,0x40,0x5b,0xcc,0x00,0x09,0x22,0x1c]
// WAVESIZE-ERR: :[[@LINE-3]]:1: error: instruction requires wavesize=32
